;; amdgpu-corpus repo=ROCm/rocFFT kind=compiled arch=gfx906 opt=O3
	.text
	.amdgcn_target "amdgcn-amd-amdhsa--gfx906"
	.amdhsa_code_object_version 6
	.protected	fft_rtc_fwd_len686_factors_7_7_7_2_wgs_49_tpt_49_dp_op_CI_CI_sbrr_dirReg ; -- Begin function fft_rtc_fwd_len686_factors_7_7_7_2_wgs_49_tpt_49_dp_op_CI_CI_sbrr_dirReg
	.globl	fft_rtc_fwd_len686_factors_7_7_7_2_wgs_49_tpt_49_dp_op_CI_CI_sbrr_dirReg
	.p2align	8
	.type	fft_rtc_fwd_len686_factors_7_7_7_2_wgs_49_tpt_49_dp_op_CI_CI_sbrr_dirReg,@function
fft_rtc_fwd_len686_factors_7_7_7_2_wgs_49_tpt_49_dp_op_CI_CI_sbrr_dirReg: ; @fft_rtc_fwd_len686_factors_7_7_7_2_wgs_49_tpt_49_dp_op_CI_CI_sbrr_dirReg
; %bb.0:
	s_load_dwordx4 s[16:19], s[4:5], 0x18
	s_load_dwordx4 s[12:15], s[4:5], 0x0
	;; [unrolled: 1-line block ×3, first 2 shown]
	v_mul_u32_u24_e32 v1, 0x53a, v0
	v_add_u32_sdwa v10, s6, v1 dst_sel:DWORD dst_unused:UNUSED_PAD src0_sel:DWORD src1_sel:WORD_1
	s_waitcnt lgkmcnt(0)
	s_load_dwordx2 s[20:21], s[16:17], 0x0
	s_load_dwordx2 s[2:3], s[18:19], 0x0
	v_cmp_lt_u64_e64 s[0:1], s[14:15], 2
	v_mov_b32_e32 v6, 0
	v_mov_b32_e32 v1, 0
	;; [unrolled: 1-line block ×3, first 2 shown]
	s_and_b64 vcc, exec, s[0:1]
	v_mov_b32_e32 v2, 0
	s_cbranch_vccnz .LBB0_8
; %bb.1:
	s_load_dwordx2 s[0:1], s[4:5], 0x10
	s_add_u32 s6, s18, 8
	s_addc_u32 s7, s19, 0
	s_add_u32 s22, s16, 8
	v_mov_b32_e32 v1, 0
	s_addc_u32 s23, s17, 0
	v_mov_b32_e32 v2, 0
	s_waitcnt lgkmcnt(0)
	s_add_u32 s24, s0, 8
	v_mov_b32_e32 v5, v2
	s_addc_u32 s25, s1, 0
	s_mov_b64 s[26:27], 1
	v_mov_b32_e32 v4, v1
.LBB0_2:                                ; =>This Inner Loop Header: Depth=1
	s_load_dwordx2 s[28:29], s[24:25], 0x0
                                        ; implicit-def: $vgpr8_vgpr9
	s_waitcnt lgkmcnt(0)
	v_or_b32_e32 v7, s29, v11
	v_cmp_ne_u64_e32 vcc, 0, v[6:7]
	s_and_saveexec_b64 s[0:1], vcc
	s_xor_b64 s[30:31], exec, s[0:1]
	s_cbranch_execz .LBB0_4
; %bb.3:                                ;   in Loop: Header=BB0_2 Depth=1
	v_cvt_f32_u32_e32 v3, s28
	v_cvt_f32_u32_e32 v7, s29
	s_sub_u32 s0, 0, s28
	s_subb_u32 s1, 0, s29
	v_mac_f32_e32 v3, 0x4f800000, v7
	v_rcp_f32_e32 v3, v3
	v_mul_f32_e32 v3, 0x5f7ffffc, v3
	v_mul_f32_e32 v7, 0x2f800000, v3
	v_trunc_f32_e32 v7, v7
	v_mac_f32_e32 v3, 0xcf800000, v7
	v_cvt_u32_f32_e32 v7, v7
	v_cvt_u32_f32_e32 v3, v3
	v_mul_lo_u32 v8, s0, v7
	v_mul_hi_u32 v9, s0, v3
	v_mul_lo_u32 v13, s1, v3
	v_mul_lo_u32 v12, s0, v3
	v_add_u32_e32 v8, v9, v8
	v_add_u32_e32 v8, v8, v13
	v_mul_hi_u32 v9, v3, v12
	v_mul_lo_u32 v13, v3, v8
	v_mul_hi_u32 v15, v3, v8
	v_mul_hi_u32 v14, v7, v12
	v_mul_lo_u32 v12, v7, v12
	v_mul_hi_u32 v16, v7, v8
	v_add_co_u32_e32 v9, vcc, v9, v13
	v_addc_co_u32_e32 v13, vcc, 0, v15, vcc
	v_mul_lo_u32 v8, v7, v8
	v_add_co_u32_e32 v9, vcc, v9, v12
	v_addc_co_u32_e32 v9, vcc, v13, v14, vcc
	v_addc_co_u32_e32 v12, vcc, 0, v16, vcc
	v_add_co_u32_e32 v8, vcc, v9, v8
	v_addc_co_u32_e32 v9, vcc, 0, v12, vcc
	v_add_co_u32_e32 v3, vcc, v3, v8
	v_addc_co_u32_e32 v7, vcc, v7, v9, vcc
	v_mul_lo_u32 v8, s0, v7
	v_mul_hi_u32 v9, s0, v3
	v_mul_lo_u32 v12, s1, v3
	v_mul_lo_u32 v13, s0, v3
	v_add_u32_e32 v8, v9, v8
	v_add_u32_e32 v8, v8, v12
	v_mul_lo_u32 v14, v3, v8
	v_mul_hi_u32 v15, v3, v13
	v_mul_hi_u32 v16, v3, v8
	;; [unrolled: 1-line block ×3, first 2 shown]
	v_mul_lo_u32 v13, v7, v13
	v_mul_hi_u32 v9, v7, v8
	v_add_co_u32_e32 v14, vcc, v15, v14
	v_addc_co_u32_e32 v15, vcc, 0, v16, vcc
	v_mul_lo_u32 v8, v7, v8
	v_add_co_u32_e32 v13, vcc, v14, v13
	v_addc_co_u32_e32 v12, vcc, v15, v12, vcc
	v_addc_co_u32_e32 v9, vcc, 0, v9, vcc
	v_add_co_u32_e32 v8, vcc, v12, v8
	v_addc_co_u32_e32 v9, vcc, 0, v9, vcc
	v_add_co_u32_e32 v3, vcc, v3, v8
	v_addc_co_u32_e32 v9, vcc, v7, v9, vcc
	v_mad_u64_u32 v[7:8], s[0:1], v10, v9, 0
	v_mul_hi_u32 v12, v10, v3
	v_add_co_u32_e32 v14, vcc, v12, v7
	v_addc_co_u32_e32 v15, vcc, 0, v8, vcc
	v_mad_u64_u32 v[7:8], s[0:1], v11, v3, 0
	v_mad_u64_u32 v[12:13], s[0:1], v11, v9, 0
	v_add_co_u32_e32 v3, vcc, v14, v7
	v_addc_co_u32_e32 v3, vcc, v15, v8, vcc
	v_addc_co_u32_e32 v7, vcc, 0, v13, vcc
	v_add_co_u32_e32 v3, vcc, v3, v12
	v_addc_co_u32_e32 v9, vcc, 0, v7, vcc
	v_mul_lo_u32 v12, s29, v3
	v_mul_lo_u32 v13, s28, v9
	v_mad_u64_u32 v[7:8], s[0:1], s28, v3, 0
	v_add3_u32 v8, v8, v13, v12
	v_sub_u32_e32 v12, v11, v8
	v_mov_b32_e32 v13, s29
	v_sub_co_u32_e32 v7, vcc, v10, v7
	v_subb_co_u32_e64 v12, s[0:1], v12, v13, vcc
	v_subrev_co_u32_e64 v13, s[0:1], s28, v7
	v_subbrev_co_u32_e64 v12, s[0:1], 0, v12, s[0:1]
	v_cmp_le_u32_e64 s[0:1], s29, v12
	v_cndmask_b32_e64 v14, 0, -1, s[0:1]
	v_cmp_le_u32_e64 s[0:1], s28, v13
	v_cndmask_b32_e64 v13, 0, -1, s[0:1]
	v_cmp_eq_u32_e64 s[0:1], s29, v12
	v_cndmask_b32_e64 v12, v14, v13, s[0:1]
	v_add_co_u32_e64 v13, s[0:1], 2, v3
	v_addc_co_u32_e64 v14, s[0:1], 0, v9, s[0:1]
	v_add_co_u32_e64 v15, s[0:1], 1, v3
	v_addc_co_u32_e64 v16, s[0:1], 0, v9, s[0:1]
	v_subb_co_u32_e32 v8, vcc, v11, v8, vcc
	v_cmp_ne_u32_e64 s[0:1], 0, v12
	v_cmp_le_u32_e32 vcc, s29, v8
	v_cndmask_b32_e64 v12, v16, v14, s[0:1]
	v_cndmask_b32_e64 v14, 0, -1, vcc
	v_cmp_le_u32_e32 vcc, s28, v7
	v_cndmask_b32_e64 v7, 0, -1, vcc
	v_cmp_eq_u32_e32 vcc, s29, v8
	v_cndmask_b32_e32 v7, v14, v7, vcc
	v_cmp_ne_u32_e32 vcc, 0, v7
	v_cndmask_b32_e64 v7, v15, v13, s[0:1]
	v_cndmask_b32_e32 v9, v9, v12, vcc
	v_cndmask_b32_e32 v8, v3, v7, vcc
.LBB0_4:                                ;   in Loop: Header=BB0_2 Depth=1
	s_andn2_saveexec_b64 s[0:1], s[30:31]
	s_cbranch_execz .LBB0_6
; %bb.5:                                ;   in Loop: Header=BB0_2 Depth=1
	v_cvt_f32_u32_e32 v3, s28
	s_sub_i32 s30, 0, s28
	v_rcp_iflag_f32_e32 v3, v3
	v_mul_f32_e32 v3, 0x4f7ffffe, v3
	v_cvt_u32_f32_e32 v3, v3
	v_mul_lo_u32 v7, s30, v3
	v_mul_hi_u32 v7, v3, v7
	v_add_u32_e32 v3, v3, v7
	v_mul_hi_u32 v3, v10, v3
	v_mul_lo_u32 v7, v3, s28
	v_add_u32_e32 v8, 1, v3
	v_sub_u32_e32 v7, v10, v7
	v_subrev_u32_e32 v9, s28, v7
	v_cmp_le_u32_e32 vcc, s28, v7
	v_cndmask_b32_e32 v7, v7, v9, vcc
	v_cndmask_b32_e32 v3, v3, v8, vcc
	v_add_u32_e32 v8, 1, v3
	v_cmp_le_u32_e32 vcc, s28, v7
	v_cndmask_b32_e32 v8, v3, v8, vcc
	v_mov_b32_e32 v9, v6
.LBB0_6:                                ;   in Loop: Header=BB0_2 Depth=1
	s_or_b64 exec, exec, s[0:1]
	v_mul_lo_u32 v3, v9, s28
	v_mul_lo_u32 v7, v8, s29
	v_mad_u64_u32 v[12:13], s[0:1], v8, s28, 0
	s_load_dwordx2 s[0:1], s[22:23], 0x0
	s_load_dwordx2 s[28:29], s[6:7], 0x0
	v_add3_u32 v3, v13, v7, v3
	v_sub_co_u32_e32 v7, vcc, v10, v12
	v_subb_co_u32_e32 v3, vcc, v11, v3, vcc
	s_waitcnt lgkmcnt(0)
	v_mul_lo_u32 v10, s0, v3
	v_mul_lo_u32 v11, s1, v7
	v_mad_u64_u32 v[1:2], s[0:1], s0, v7, v[1:2]
	s_add_u32 s26, s26, 1
	s_addc_u32 s27, s27, 0
	s_add_u32 s6, s6, 8
	v_mul_lo_u32 v3, s28, v3
	v_mul_lo_u32 v12, s29, v7
	v_mad_u64_u32 v[4:5], s[0:1], s28, v7, v[4:5]
	v_add3_u32 v2, v11, v2, v10
	s_addc_u32 s7, s7, 0
	v_mov_b32_e32 v10, s14
	s_add_u32 s22, s22, 8
	v_mov_b32_e32 v11, s15
	s_addc_u32 s23, s23, 0
	v_cmp_ge_u64_e32 vcc, s[26:27], v[10:11]
	s_add_u32 s24, s24, 8
	v_add3_u32 v5, v12, v5, v3
	s_addc_u32 s25, s25, 0
	s_cbranch_vccnz .LBB0_9
; %bb.7:                                ;   in Loop: Header=BB0_2 Depth=1
	v_mov_b32_e32 v11, v9
	v_mov_b32_e32 v10, v8
	s_branch .LBB0_2
.LBB0_8:
	v_mov_b32_e32 v5, v2
	v_mov_b32_e32 v8, v10
	;; [unrolled: 1-line block ×4, first 2 shown]
.LBB0_9:
	s_load_dwordx2 s[0:1], s[4:5], 0x28
	s_lshl_b64 s[14:15], s[14:15], 3
	s_add_u32 s4, s18, s14
	s_addc_u32 s5, s19, s15
                                        ; implicit-def: $vgpr6
                                        ; implicit-def: $vgpr20
                                        ; implicit-def: $vgpr16
                                        ; implicit-def: $vgpr18
                                        ; implicit-def: $vgpr14
                                        ; implicit-def: $vgpr10
                                        ; implicit-def: $vgpr12
	s_waitcnt lgkmcnt(0)
	v_cmp_gt_u64_e32 vcc, s[0:1], v[8:9]
	v_cmp_le_u64_e64 s[0:1], s[0:1], v[8:9]
	s_and_saveexec_b64 s[6:7], s[0:1]
	s_xor_b64 s[0:1], exec, s[6:7]
	s_cbranch_execz .LBB0_11
; %bb.10:
	s_mov_b32 s6, 0x539782a
	v_mul_hi_u32 v1, v0, s6
	v_mov_b32_e32 v7, 0
	v_mov_b32_e32 v21, v7
	;; [unrolled: 1-line block ×3, first 2 shown]
	v_mul_u32_u24_e32 v1, 49, v1
	v_sub_u32_e32 v6, v0, v1
	v_add_u32_e32 v20, 49, v6
	v_add_u32_e32 v16, 0x62, v6
	;; [unrolled: 1-line block ×6, first 2 shown]
	v_mov_b32_e32 v11, v7
	v_mov_b32_e32 v19, v7
	;; [unrolled: 1-line block ×4, first 2 shown]
                                        ; implicit-def: $vgpr0
                                        ; implicit-def: $vgpr1_vgpr2
.LBB0_11:
	s_andn2_saveexec_b64 s[6:7], s[0:1]
	s_cbranch_execz .LBB0_13
; %bb.12:
	s_add_u32 s0, s16, s14
	s_addc_u32 s1, s17, s15
	s_mov_b32 s14, 0x539782a
	v_mul_hi_u32 v3, v0, s14
	s_load_dwordx2 s[0:1], s[0:1], 0x0
	v_mul_u32_u24_e32 v3, 49, v3
	v_sub_u32_e32 v6, v0, v3
	s_waitcnt lgkmcnt(0)
	v_mul_lo_u32 v3, s1, v8
	v_mul_lo_u32 v7, s0, v9
	v_mad_u64_u32 v[12:13], s[0:1], s0, v8, 0
	v_mad_u64_u32 v[10:11], s[14:15], s20, v6, 0
	v_add3_u32 v13, v13, v7, v3
	v_lshlrev_b64 v[12:13], 4, v[12:13]
	v_mov_b32_e32 v0, v11
	v_mad_u64_u32 v[14:15], s[0:1], s21, v6, v[0:1]
	v_mov_b32_e32 v0, s9
	v_add_co_u32_e64 v7, s[0:1], s8, v12
	v_add_u32_e32 v20, 49, v6
	v_addc_co_u32_e64 v12, s[0:1], v0, v13, s[0:1]
	v_lshlrev_b64 v[0:1], 4, v[1:2]
	v_mad_u64_u32 v[2:3], s[0:1], s20, v20, 0
	v_mov_b32_e32 v11, v14
	v_add_co_u32_e64 v15, s[0:1], v7, v0
	v_addc_co_u32_e64 v77, s[0:1], v12, v1, s[0:1]
	v_lshlrev_b64 v[0:1], 4, v[10:11]
	v_mad_u64_u32 v[10:11], s[0:1], s21, v20, v[3:4]
	v_add_co_u32_e64 v11, s[0:1], v15, v0
	v_mov_b32_e32 v3, v10
	v_addc_co_u32_e64 v12, s[0:1], v77, v1, s[0:1]
	v_lshlrev_b64 v[0:1], 4, v[2:3]
	v_add_u32_e32 v16, 0x62, v6
	v_add_co_u32_e64 v13, s[0:1], v15, v0
	v_addc_co_u32_e64 v14, s[0:1], v77, v1, s[0:1]
	v_mad_u64_u32 v[17:18], s[0:1], s20, v16, 0
	v_add_u32_e32 v10, 0x93, v6
	v_mad_u64_u32 v[25:26], s[0:1], s20, v10, 0
	v_mov_b32_e32 v0, v18
	v_mad_u64_u32 v[18:19], s[0:1], s21, v16, v[0:1]
	v_mov_b32_e32 v0, v26
	v_mad_u64_u32 v[26:27], s[0:1], s21, v10, v[0:1]
	global_load_dwordx4 v[0:3], v[11:12], off
	global_load_dwordx4 v[21:24], v[13:14], off
	v_lshlrev_b64 v[11:12], 4, v[17:18]
	v_lshlrev_b64 v[13:14], 4, v[25:26]
	v_add_co_u32_e64 v33, s[0:1], v15, v11
	v_addc_co_u32_e64 v34, s[0:1], v77, v12, s[0:1]
	v_add_co_u32_e64 v13, s[0:1], v15, v13
	v_add_u32_e32 v18, 0xc4, v6
	v_addc_co_u32_e64 v14, s[0:1], v77, v14, s[0:1]
	v_mad_u64_u32 v[35:36], s[0:1], s20, v18, 0
	v_add_u32_e32 v12, 0xf5, v6
	v_mad_u64_u32 v[37:38], s[0:1], s20, v12, 0
	v_mov_b32_e32 v7, v36
	v_mad_u64_u32 v[39:40], s[0:1], s21, v18, v[7:8]
	v_mov_b32_e32 v7, v38
	global_load_dwordx4 v[25:28], v[33:34], off
	global_load_dwordx4 v[29:32], v[13:14], off
	v_mov_b32_e32 v36, v39
	v_lshlrev_b64 v[13:14], 4, v[35:36]
	v_mad_u64_u32 v[40:41], s[0:1], s21, v12, v[7:8]
	v_add_co_u32_e64 v41, s[0:1], v15, v13
	v_addc_co_u32_e64 v42, s[0:1], v77, v14, s[0:1]
	v_add_u32_e32 v14, 0x126, v6
	v_mad_u64_u32 v[43:44], s[0:1], s20, v14, 0
	v_mov_b32_e32 v38, v40
	v_lshlrev_b64 v[33:34], 4, v[37:38]
	v_mov_b32_e32 v7, v44
	v_add_co_u32_e64 v45, s[0:1], v15, v33
	v_addc_co_u32_e64 v46, s[0:1], v77, v34, s[0:1]
	v_mad_u64_u32 v[47:48], s[0:1], s21, v14, v[7:8]
	v_add_u32_e32 v11, 0x157, v6
	v_mad_u64_u32 v[48:49], s[0:1], s20, v11, 0
	v_mov_b32_e32 v44, v47
	global_load_dwordx4 v[33:36], v[41:42], off
	global_load_dwordx4 v[37:40], v[45:46], off
	v_mov_b32_e32 v7, v49
	v_lshlrev_b64 v[41:42], 4, v[43:44]
	v_mad_u64_u32 v[43:44], s[0:1], s21, v11, v[7:8]
	v_add_co_u32_e64 v50, s[0:1], v15, v41
	v_add_u32_e32 v11, 0x188, v6
	v_addc_co_u32_e64 v51, s[0:1], v77, v42, s[0:1]
	v_mad_u64_u32 v[52:53], s[0:1], s20, v11, 0
	v_mov_b32_e32 v49, v43
	v_lshlrev_b64 v[41:42], 4, v[48:49]
	v_mov_b32_e32 v7, v53
	v_add_co_u32_e64 v54, s[0:1], v15, v41
	v_addc_co_u32_e64 v55, s[0:1], v77, v42, s[0:1]
	v_mad_u64_u32 v[56:57], s[0:1], s21, v11, v[7:8]
	v_add_u32_e32 v11, 0x1b9, v6
	v_mad_u64_u32 v[57:58], s[0:1], s20, v11, 0
	v_mov_b32_e32 v53, v56
	global_load_dwordx4 v[41:44], v[50:51], off
	global_load_dwordx4 v[45:48], v[54:55], off
	v_mov_b32_e32 v7, v58
	v_lshlrev_b64 v[49:50], 4, v[52:53]
	v_mad_u64_u32 v[51:52], s[0:1], s21, v11, v[7:8]
	v_add_co_u32_e64 v59, s[0:1], v15, v49
	v_mov_b32_e32 v58, v51
	v_add_u32_e32 v11, 0x1ea, v6
	v_addc_co_u32_e64 v60, s[0:1], v77, v50, s[0:1]
	v_lshlrev_b64 v[49:50], 4, v[57:58]
	v_mad_u64_u32 v[57:58], s[0:1], s20, v11, 0
	v_add_co_u32_e64 v61, s[0:1], v15, v49
	v_mov_b32_e32 v7, v58
	v_addc_co_u32_e64 v62, s[0:1], v77, v50, s[0:1]
	v_mad_u64_u32 v[63:64], s[0:1], s21, v11, v[7:8]
	v_add_u32_e32 v11, 0x21b, v6
	v_mad_u64_u32 v[64:65], s[0:1], s20, v11, 0
	v_mov_b32_e32 v58, v63
	global_load_dwordx4 v[49:52], v[59:60], off
	global_load_dwordx4 v[53:56], v[61:62], off
	v_mov_b32_e32 v7, v65
	v_lshlrev_b64 v[57:58], 4, v[57:58]
	v_mad_u64_u32 v[59:60], s[0:1], s21, v11, v[7:8]
	v_add_co_u32_e64 v66, s[0:1], v15, v57
	v_add_u32_e32 v11, 0x24c, v6
	v_addc_co_u32_e64 v67, s[0:1], v77, v58, s[0:1]
	v_mad_u64_u32 v[68:69], s[0:1], s20, v11, 0
	v_mov_b32_e32 v65, v59
	v_lshlrev_b64 v[57:58], 4, v[64:65]
	v_mov_b32_e32 v7, v69
	v_add_co_u32_e64 v70, s[0:1], v15, v57
	v_addc_co_u32_e64 v71, s[0:1], v77, v58, s[0:1]
	v_mad_u64_u32 v[72:73], s[0:1], s21, v11, v[7:8]
	v_add_u32_e32 v11, 0x27d, v6
	v_mad_u64_u32 v[73:74], s[0:1], s20, v11, 0
	v_mov_b32_e32 v69, v72
	global_load_dwordx4 v[57:60], v[66:67], off
	global_load_dwordx4 v[61:64], v[70:71], off
	v_mov_b32_e32 v7, v74
	v_lshlrev_b64 v[65:66], 4, v[68:69]
	v_mad_u64_u32 v[67:68], s[0:1], s21, v11, v[7:8]
	v_add_co_u32_e64 v75, s[0:1], v15, v65
	v_mov_b32_e32 v74, v67
	v_addc_co_u32_e64 v76, s[0:1], v77, v66, s[0:1]
	v_lshlrev_b64 v[65:66], 4, v[73:74]
	v_lshl_add_u32 v7, v6, 4, 0
	v_add_co_u32_e64 v73, s[0:1], v15, v65
	v_addc_co_u32_e64 v74, s[0:1], v77, v66, s[0:1]
	global_load_dwordx4 v[65:68], v[75:76], off
	global_load_dwordx4 v[69:72], v[73:74], off
	s_waitcnt vmcnt(13)
	ds_write_b128 v7, v[0:3]
	s_waitcnt vmcnt(12)
	ds_write_b128 v7, v[21:24] offset:784
	s_waitcnt vmcnt(11)
	ds_write_b128 v7, v[25:28] offset:1568
	;; [unrolled: 2-line block ×13, first 2 shown]
	v_mov_b32_e32 v7, 0
	v_mov_b32_e32 v21, v7
	;; [unrolled: 1-line block ×7, first 2 shown]
.LBB0_13:
	s_or_b64 exec, exec, s[6:7]
	v_lshl_add_u32 v22, v6, 4, 0
	s_load_dwordx2 s[4:5], s[4:5], 0x0
	s_waitcnt lgkmcnt(0)
	; wave barrier
	s_waitcnt lgkmcnt(0)
	ds_read_b128 v[0:3], v22 offset:9408
	ds_read_b128 v[23:26], v22 offset:1568
	;; [unrolled: 1-line block ×6, first 2 shown]
	s_mov_b32 s0, 0x36b3c0b5
	s_waitcnt lgkmcnt(4)
	v_add_f64 v[51:52], v[23:24], v[0:1]
	v_add_f64 v[53:54], v[25:26], v[2:3]
	v_add_f64 v[55:56], v[23:24], -v[0:1]
	v_add_f64 v[57:58], v[25:26], -v[2:3]
	ds_read_b128 v[0:3], v22 offset:3920
	ds_read_b128 v[23:26], v22 offset:8624
	;; [unrolled: 1-line block ×4, first 2 shown]
	s_waitcnt lgkmcnt(4)
	v_add_f64 v[59:60], v[39:40], v[35:36]
	v_add_f64 v[61:62], v[41:42], v[37:38]
	v_add_f64 v[63:64], v[39:40], -v[35:36]
	v_add_f64 v[65:66], v[41:42], -v[37:38]
	s_waitcnt lgkmcnt(0)
	v_add_f64 v[67:68], v[47:48], v[43:44]
	v_add_f64 v[69:70], v[49:50], v[45:46]
	v_add_f64 v[43:44], v[43:44], -v[47:48]
	v_add_f64 v[45:46], v[45:46], -v[49:50]
	v_add_f64 v[73:74], v[29:30], v[33:34]
	v_add_f64 v[47:48], v[59:60], v[51:52]
	v_add_f64 v[77:78], v[29:30], -v[33:34]
	ds_read_b128 v[35:38], v22 offset:5488
	ds_read_b128 v[39:42], v22 offset:7056
	v_add_f64 v[33:34], v[67:68], -v[59:60]
	s_mov_b32 s1, 0x3fac98ee
	v_add_f64 v[71:72], v[27:28], v[31:32]
	v_add_f64 v[49:50], v[61:62], v[53:54]
	v_add_f64 v[75:76], v[27:28], -v[31:32]
	v_add_f64 v[27:28], v[67:68], v[47:48]
	s_waitcnt lgkmcnt(0)
	v_add_f64 v[87:88], v[35:36], v[39:40]
	v_add_f64 v[89:90], v[37:38], v[41:42]
	v_add_f64 v[91:92], v[39:40], -v[35:36]
	v_add_f64 v[93:94], v[41:42], -v[37:38]
	;; [unrolled: 1-line block ×3, first 2 shown]
	v_add_f64 v[35:36], v[43:44], v[63:64]
	v_add_f64 v[37:38], v[51:52], -v[67:68]
	v_add_f64 v[39:40], v[61:62], -v[53:54]
	v_add_f64 v[41:42], v[69:70], -v[61:62]
	v_add_f64 v[47:48], v[53:54], -v[69:70]
	v_add_f64 v[53:54], v[45:46], v[65:66]
	v_mul_f64 v[61:62], v[33:34], s[0:1]
	s_mov_b32 s14, 0x37e14327
	s_mov_b32 s22, 0x5476071b
	;; [unrolled: 1-line block ×4, first 2 shown]
	v_add_f64 v[29:30], v[69:70], v[49:50]
	v_add_f64 v[49:50], v[43:44], -v[63:64]
	v_add_f64 v[51:52], v[63:64], -v[55:56]
	v_add_f64 v[35:36], v[35:36], v[55:56]
	v_add_f64 v[43:44], v[55:56], -v[43:44]
	v_add_f64 v[55:56], v[45:46], -v[65:66]
	;; [unrolled: 1-line block ×3, first 2 shown]
	v_add_f64 v[53:54], v[53:54], v[57:58]
	v_add_f64 v[45:46], v[57:58], -v[45:46]
	v_mul_f64 v[37:38], v[37:38], s[14:15]
	v_fma_f64 v[57:58], v[31:32], s[22:23], -v[61:62]
	v_mul_f64 v[61:62], v[41:42], s[0:1]
	v_mul_f64 v[47:48], v[47:48], s[14:15]
	v_add_f64 v[79:80], v[0:1], v[23:24]
	v_add_f64 v[81:82], v[2:3], v[25:26]
	v_add_f64 v[83:84], v[0:1], -v[23:24]
	v_add_f64 v[85:86], v[2:3], -v[25:26]
	ds_read_b128 v[0:3], v22
	ds_read_b128 v[23:26], v22 offset:784
	s_mov_b32 s24, 0xe976ee23
	s_mov_b32 s20, 0x429ad128
	;; [unrolled: 1-line block ×6, first 2 shown]
	s_waitcnt lgkmcnt(1)
	v_add_f64 v[0:1], v[0:1], v[27:28]
	v_add_f64 v[2:3], v[2:3], v[29:30]
	v_fma_f64 v[31:32], v[31:32], s[8:9], -v[37:38]
	v_mul_f64 v[55:56], v[55:56], s[24:25]
	v_fma_f64 v[33:34], v[33:34], s[0:1], v[37:38]
	v_fma_f64 v[37:38], v[39:40], s[22:23], -v[61:62]
	v_fma_f64 v[39:40], v[39:40], s[8:9], -v[47:48]
	v_fma_f64 v[41:42], v[41:42], s[0:1], v[47:48]
	v_mul_f64 v[47:48], v[59:60], s[20:21]
	v_mul_f64 v[49:50], v[49:50], s[24:25]
	;; [unrolled: 1-line block ×3, first 2 shown]
	s_mov_b32 s6, 0xb247c609
	s_mov_b32 s26, 0xaaaaaaaa
	;; [unrolled: 1-line block ×6, first 2 shown]
	v_fma_f64 v[59:60], v[59:60], s[20:21], -v[55:56]
	v_fma_f64 v[27:28], v[27:28], s[26:27], v[0:1]
	v_fma_f64 v[29:30], v[29:30], s[26:27], v[2:3]
	v_fma_f64 v[47:48], v[45:46], s[18:19], -v[47:48]
	v_fma_f64 v[45:46], v[45:46], s[6:7], v[55:56]
	v_fma_f64 v[51:52], v[51:52], s[20:21], -v[49:50]
	v_fma_f64 v[55:56], v[43:44], s[18:19], -v[61:62]
	s_mov_b32 s16, 0x37c3f68c
	s_mov_b32 s17, 0x3fdc38aa
	v_fma_f64 v[43:44], v[43:44], s[6:7], v[49:50]
	v_add_f64 v[49:50], v[57:58], v[27:28]
	v_add_f64 v[57:58], v[31:32], v[27:28]
	;; [unrolled: 1-line block ×3, first 2 shown]
	v_fma_f64 v[31:32], v[53:54], s[16:17], v[59:60]
	v_fma_f64 v[51:52], v[35:36], s[16:17], v[51:52]
	v_add_f64 v[59:60], v[33:34], v[27:28]
	v_add_f64 v[61:62], v[39:40], v[29:30]
	v_fma_f64 v[39:40], v[53:54], s[16:17], v[47:48]
	v_fma_f64 v[47:48], v[35:36], s[16:17], v[55:56]
	;; [unrolled: 1-line block ×3, first 2 shown]
	v_add_f64 v[55:56], v[41:42], v[29:30]
	v_fma_f64 v[63:64], v[35:36], s[16:17], v[43:44]
	v_add_f64 v[29:30], v[51:52], v[37:38]
	v_add_f64 v[33:34], v[37:38], -v[51:52]
	v_add_f64 v[51:52], v[79:80], v[71:72]
	v_add_f64 v[35:36], v[57:58], v[39:40]
	v_add_f64 v[37:38], v[61:62], -v[47:48]
	v_add_f64 v[41:42], v[47:48], v[61:62]
	;; [unrolled: 3-line block ×3, first 2 shown]
	v_add_f64 v[45:46], v[55:56], -v[63:64]
	v_add_f64 v[51:52], v[87:88], v[51:52]
	v_add_f64 v[27:28], v[49:50], -v[31:32]
	v_add_f64 v[31:32], v[49:50], v[31:32]
	;; [unrolled: 2-line block ×3, first 2 shown]
	s_movk_i32 s28, 0x60
	v_add_f64 v[53:54], v[89:90], v[53:54]
	v_mad_u32_u24 v55, v6, s28, v22
	s_waitcnt lgkmcnt(0)
	; wave barrier
	s_waitcnt lgkmcnt(0)
	ds_write_b128 v55, v[0:3]
	v_add_f64 v[0:1], v[23:24], v[51:52]
	ds_write_b128 v55, v[43:46] offset:16
	ds_write_b128 v55, v[35:38] offset:32
	ds_write_b128 v55, v[27:30] offset:48
	ds_write_b128 v55, v[31:34] offset:64
	ds_write_b128 v55, v[39:42] offset:80
	ds_write_b128 v55, v[47:50] offset:96
	v_add_f64 v[27:28], v[93:94], -v[85:86]
	v_add_f64 v[2:3], v[25:26], v[53:54]
	v_add_f64 v[37:38], v[91:92], -v[83:84]
	v_add_f64 v[23:24], v[87:88], -v[79:80]
	;; [unrolled: 1-line block ×4, first 2 shown]
	v_fma_f64 v[43:44], v[51:52], s[26:27], v[0:1]
	v_add_f64 v[51:52], v[71:72], -v[87:88]
	v_mul_f64 v[27:28], v[27:28], s[24:25]
	v_fma_f64 v[47:48], v[53:54], s[26:27], v[2:3]
	v_add_f64 v[53:54], v[73:74], -v[89:90]
	v_add_f64 v[49:50], v[83:84], -v[75:76]
	v_mul_f64 v[37:38], v[37:38], s[24:25]
	v_add_f64 v[29:30], v[79:80], -v[71:72]
	v_add_f64 v[31:32], v[81:82], -v[73:74]
	v_add_f64 v[33:34], v[93:94], v[85:86]
	v_mul_f64 v[39:40], v[23:24], s[0:1]
	v_mul_f64 v[41:42], v[25:26], s[0:1]
	v_add_f64 v[45:46], v[91:92], v[83:84]
	v_add_f64 v[59:60], v[75:76], -v[91:92]
	v_add_f64 v[61:62], v[77:78], -v[93:94]
	v_mul_f64 v[51:52], v[51:52], s[14:15]
	v_mul_f64 v[53:54], v[53:54], s[14:15]
	v_fma_f64 v[55:56], v[35:36], s[20:21], -v[27:28]
	v_fma_f64 v[57:58], v[49:50], s[20:21], -v[37:38]
	v_mul_f64 v[35:36], v[35:36], s[20:21]
	v_mul_f64 v[49:50], v[49:50], s[20:21]
	v_fma_f64 v[39:40], v[29:30], s[22:23], -v[39:40]
	v_fma_f64 v[41:42], v[31:32], s[22:23], -v[41:42]
	v_add_f64 v[45:46], v[45:46], v[75:76]
	v_add_f64 v[33:34], v[33:34], v[77:78]
	v_fma_f64 v[23:24], v[23:24], s[0:1], v[51:52]
	v_fma_f64 v[25:26], v[25:26], s[0:1], v[53:54]
	;; [unrolled: 1-line block ×4, first 2 shown]
	v_fma_f64 v[29:30], v[29:30], s[8:9], -v[51:52]
	v_fma_f64 v[31:32], v[31:32], s[8:9], -v[53:54]
	;; [unrolled: 1-line block ×4, first 2 shown]
	v_add_f64 v[39:40], v[39:40], v[43:44]
	v_add_f64 v[41:42], v[41:42], v[47:48]
	v_fma_f64 v[55:56], v[33:34], s[16:17], v[55:56]
	v_fma_f64 v[57:58], v[45:46], s[16:17], v[57:58]
	v_add_f64 v[61:62], v[23:24], v[43:44]
	v_add_f64 v[63:64], v[25:26], v[47:48]
	v_fma_f64 v[27:28], v[33:34], s[16:17], v[27:28]
	v_fma_f64 v[65:66], v[45:46], s[16:17], v[37:38]
	;; [unrolled: 4-line block ×3, first 2 shown]
	v_add_f64 v[23:24], v[39:40], -v[55:56]
	v_add_f64 v[25:26], v[57:58], v[41:42]
	v_add_f64 v[30:31], v[39:40], v[55:56]
	v_add_f64 v[32:33], v[41:42], -v[57:58]
	v_add_f64 v[38:39], v[61:62], v[27:28]
	v_add_f64 v[40:41], v[63:64], -v[65:66]
	;; [unrolled: 2-line block ×3, first 2 shown]
	v_add_f64 v[42:43], v[51:52], -v[59:60]
	v_add_f64 v[44:45], v[49:50], v[53:54]
	v_add_f64 v[46:47], v[61:62], -v[27:28]
	v_add_f64 v[48:49], v[65:66], v[63:64]
	s_movk_i32 s28, 0x70
	v_mad_i32_i24 v29, v20, s28, 0
	ds_write_b128 v29, v[0:3]
	ds_write_b128 v29, v[38:41] offset:16
	ds_write_b128 v29, v[34:37] offset:32
	;; [unrolled: 1-line block ×6, first 2 shown]
	v_mov_b32_e32 v23, 37
	v_mul_lo_u16_sdwa v0, v6, v23 dst_sel:DWORD dst_unused:UNUSED_PAD src0_sel:BYTE_0 src1_sel:DWORD
	v_sub_u16_sdwa v1, v6, v0 dst_sel:DWORD dst_unused:UNUSED_PAD src0_sel:DWORD src1_sel:BYTE_1
	v_lshrrev_b16_e32 v1, 1, v1
	v_and_b32_e32 v1, 0x7f, v1
	v_add_u16_sdwa v0, v1, v0 dst_sel:DWORD dst_unused:UNUSED_PAD src0_sel:DWORD src1_sel:BYTE_1
	v_lshrrev_b16_e32 v27, 2, v0
	v_mul_lo_u16_e32 v0, 7, v27
	v_sub_u16_e32 v28, v6, v0
	v_mov_b32_e32 v24, 6
	v_mul_u32_u24_sdwa v0, v28, v24 dst_sel:DWORD dst_unused:UNUSED_PAD src0_sel:BYTE_0 src1_sel:DWORD
	v_lshlrev_b32_e32 v25, 4, v0
	s_waitcnt lgkmcnt(0)
	; wave barrier
	s_waitcnt lgkmcnt(0)
	global_load_dwordx4 v[0:3], v25, s[12:13]
	global_load_dwordx4 v[30:33], v25, s[12:13] offset:16
	global_load_dwordx4 v[34:37], v25, s[12:13] offset:32
	global_load_dwordx4 v[38:41], v25, s[12:13] offset:48
	global_load_dwordx4 v[42:45], v25, s[12:13] offset:64
	global_load_dwordx4 v[46:49], v25, s[12:13] offset:80
	v_mul_lo_u16_sdwa v23, v20, v23 dst_sel:DWORD dst_unused:UNUSED_PAD src0_sel:BYTE_0 src1_sel:DWORD
	v_sub_u16_sdwa v25, v20, v23 dst_sel:DWORD dst_unused:UNUSED_PAD src0_sel:DWORD src1_sel:BYTE_1
	v_lshrrev_b16_e32 v25, 1, v25
	v_and_b32_e32 v25, 0x7f, v25
	v_add_u16_sdwa v23, v25, v23 dst_sel:DWORD dst_unused:UNUSED_PAD src0_sel:DWORD src1_sel:BYTE_1
	v_lshrrev_b16_e32 v25, 2, v23
	v_mul_lo_u16_e32 v23, 7, v25
	v_sub_u16_e32 v26, v20, v23
	v_mul_u32_u24_sdwa v23, v26, v24 dst_sel:DWORD dst_unused:UNUSED_PAD src0_sel:BYTE_0 src1_sel:DWORD
	v_lshlrev_b32_e32 v94, 4, v23
	global_load_dwordx4 v[50:53], v94, s[12:13]
	global_load_dwordx4 v[54:57], v94, s[12:13] offset:16
	global_load_dwordx4 v[58:61], v94, s[12:13] offset:32
	;; [unrolled: 1-line block ×4, first 2 shown]
	v_lshl_add_u32 v23, v18, 4, 0
	ds_read_b128 v[74:77], v23
	v_lshl_add_u32 v24, v16, 4, 0
	ds_read_b128 v[70:73], v24
	s_movk_i32 s28, 0xffa0
	s_waitcnt vmcnt(9) lgkmcnt(1)
	v_mul_f64 v[90:91], v[76:77], v[32:33]
	v_mul_f64 v[32:33], v[74:75], v[32:33]
	v_fma_f64 v[104:105], v[74:75], v[30:31], -v[90:91]
	v_fma_f64 v[106:107], v[76:77], v[30:31], v[32:33]
	ds_read_b128 v[74:77], v22 offset:7840
	s_waitcnt lgkmcnt(1)
	v_mul_f64 v[86:87], v[72:73], v[2:3]
	v_mul_f64 v[88:89], v[70:71], v[2:3]
	v_lshl_add_u32 v2, v14, 4, 0
	ds_read_b128 v[78:81], v2
	v_mad_i32_i24 v3, v20, s28, v29
	ds_read_b128 v[82:85], v3
	ds_read_b128 v[29:32], v22 offset:7056
	s_waitcnt vmcnt(6) lgkmcnt(3)
	v_mul_f64 v[110:111], v[76:77], v[44:45]
	s_waitcnt lgkmcnt(2)
	v_mul_f64 v[92:93], v[80:81], v[36:37]
	v_fma_f64 v[102:103], v[70:71], v[0:1], -v[86:87]
	v_fma_f64 v[0:1], v[72:73], v[0:1], v[88:89]
	global_load_dwordx4 v[86:89], v94, s[12:13] offset:80
	v_mul_f64 v[36:37], v[78:79], v[36:37]
	ds_read_b128 v[70:73], v22 offset:6272
	v_mul_f64 v[44:45], v[74:75], v[44:45]
	v_fma_f64 v[74:75], v[74:75], v[42:43], -v[110:111]
	v_fma_f64 v[78:79], v[78:79], v[34:35], -v[92:93]
	ds_read_b128 v[90:93], v22 offset:9408
	ds_read_b128 v[94:97], v22 offset:8624
	s_waitcnt lgkmcnt(2)
	v_mul_f64 v[108:109], v[72:73], v[40:41]
	v_mul_f64 v[40:41], v[70:71], v[40:41]
	ds_read_b128 v[98:101], v22 offset:10192
	s_waitcnt vmcnt(6) lgkmcnt(2)
	v_mul_f64 v[112:113], v[92:93], v[48:49]
	v_mul_f64 v[48:49], v[90:91], v[48:49]
	v_fma_f64 v[76:77], v[76:77], v[42:43], v[44:45]
	v_fma_f64 v[80:81], v[80:81], v[34:35], v[36:37]
	ds_read_b128 v[33:36], v22 offset:2352
	v_fma_f64 v[70:71], v[70:71], v[38:39], -v[108:109]
	v_fma_f64 v[72:73], v[72:73], v[38:39], v[40:41]
	ds_read_b128 v[37:40], v22 offset:3920
	ds_read_b128 v[41:44], v22
	v_fma_f64 v[90:91], v[90:91], v[46:47], -v[112:113]
	v_fma_f64 v[92:93], v[92:93], v[46:47], v[48:49]
	s_waitcnt vmcnt(5) lgkmcnt(2)
	v_mul_f64 v[108:109], v[35:36], v[52:53]
	v_mul_f64 v[52:53], v[33:34], v[52:53]
	s_waitcnt vmcnt(4) lgkmcnt(1)
	v_mul_f64 v[110:111], v[39:40], v[56:57]
	v_mul_f64 v[56:57], v[37:38], v[56:57]
	v_add_f64 v[114:115], v[104:105], v[74:75]
	v_add_f64 v[118:119], v[106:107], v[76:77]
	;; [unrolled: 1-line block ×4, first 2 shown]
	v_fma_f64 v[108:109], v[33:34], v[50:51], -v[108:109]
	v_fma_f64 v[120:121], v[35:36], v[50:51], v[52:53]
	v_fma_f64 v[110:111], v[37:38], v[54:55], -v[110:111]
	v_fma_f64 v[122:123], v[39:40], v[54:55], v[56:57]
	v_add_f64 v[33:34], v[78:79], v[70:71]
	v_add_f64 v[37:38], v[80:81], v[72:73]
	;; [unrolled: 1-line block ×4, first 2 shown]
	s_waitcnt vmcnt(2)
	v_mul_f64 v[53:54], v[31:32], v[64:65]
	v_mul_f64 v[55:56], v[29:30], v[64:65]
	ds_read_b128 v[45:48], v22 offset:5488
	s_waitcnt vmcnt(1)
	v_mul_f64 v[64:65], v[94:95], v[68:69]
	v_add_f64 v[0:1], v[0:1], -v[92:93]
	s_waitcnt lgkmcnt(0)
	v_add_f64 v[35:36], v[33:34], v[35:36]
	v_add_f64 v[39:40], v[37:38], v[39:40]
	v_mul_f64 v[49:50], v[47:48], v[60:61]
	v_mul_f64 v[51:52], v[45:46], v[60:61]
	;; [unrolled: 1-line block ×3, first 2 shown]
	v_fma_f64 v[124:125], v[29:30], v[62:63], -v[53:54]
	v_fma_f64 v[62:63], v[31:32], v[62:63], v[55:56]
	v_fma_f64 v[64:65], v[96:97], v[66:67], v[64:65]
	v_add_f64 v[29:30], v[41:42], v[35:36]
	v_add_f64 v[31:32], v[43:44], v[39:40]
	v_add_f64 v[41:42], v[106:107], -v[76:77]
	v_add_f64 v[43:44], v[72:73], -v[80:81]
	v_fma_f64 v[68:69], v[45:46], v[58:59], -v[49:50]
	v_fma_f64 v[57:58], v[47:48], v[58:59], v[51:52]
	v_fma_f64 v[59:60], v[94:95], v[66:67], -v[60:61]
	v_add_f64 v[45:46], v[104:105], -v[74:75]
	v_add_f64 v[47:48], v[70:71], -v[78:79]
	;; [unrolled: 1-line block ×8, first 2 shown]
	v_add_f64 v[74:75], v[43:44], v[41:42]
	v_add_f64 v[72:73], v[47:48], -v[45:46]
	v_add_f64 v[41:42], v[41:42], -v[0:1]
	v_mul_f64 v[76:77], v[51:52], s[0:1]
	v_mul_f64 v[78:79], v[53:54], s[0:1]
	v_add_f64 v[80:81], v[47:48], v[45:46]
	v_mul_f64 v[66:67], v[66:67], s[24:25]
	v_add_f64 v[33:34], v[112:113], -v[33:34]
	v_add_f64 v[45:46], v[45:46], -v[49:50]
	v_mul_f64 v[72:73], v[72:73], s[24:25]
	v_fma_f64 v[90:91], v[35:36], s[26:27], v[29:30]
	v_fma_f64 v[35:36], v[55:56], s[22:23], -v[76:77]
	v_fma_f64 v[76:77], v[70:71], s[22:23], -v[78:79]
	v_add_f64 v[78:79], v[80:81], v[49:50]
	v_add_f64 v[74:75], v[74:75], v[0:1]
	v_fma_f64 v[80:81], v[41:42], s[20:21], -v[66:67]
	v_add_f64 v[37:38], v[116:117], -v[37:38]
	v_add_f64 v[0:1], v[0:1], -v[43:44]
	v_mul_f64 v[43:44], v[33:34], s[14:15]
	v_mul_f64 v[41:42], v[41:42], s[20:21]
	v_fma_f64 v[92:93], v[45:46], s[20:21], -v[72:73]
	s_waitcnt vmcnt(0)
	v_mul_f64 v[94:95], v[100:101], v[88:89]
	v_add_f64 v[47:48], v[49:50], -v[47:48]
	v_mul_f64 v[45:46], v[45:46], s[20:21]
	v_mul_f64 v[37:38], v[37:38], s[14:15]
	v_fma_f64 v[39:40], v[39:40], s[26:27], v[31:32]
	v_fma_f64 v[49:50], v[55:56], s[8:9], -v[43:44]
	v_fma_f64 v[41:42], v[0:1], s[18:19], -v[41:42]
	v_fma_f64 v[43:44], v[51:52], s[0:1], v[43:44]
	v_fma_f64 v[0:1], v[0:1], s[6:7], v[66:67]
	v_fma_f64 v[94:95], v[98:99], v[86:87], -v[94:95]
	v_fma_f64 v[45:46], v[47:48], s[18:19], -v[45:46]
	v_fma_f64 v[55:56], v[70:71], s[8:9], -v[37:38]
	v_fma_f64 v[37:38], v[53:54], s[0:1], v[37:38]
	v_fma_f64 v[47:48], v[47:48], s[6:7], v[72:73]
	v_add_f64 v[49:50], v[49:50], v[90:91]
	v_fma_f64 v[53:54], v[74:75], s[16:17], v[41:42]
	v_add_f64 v[66:67], v[43:44], v[90:91]
	;; [unrolled: 2-line block ×6, first 2 shown]
	v_add_f64 v[45:46], v[49:50], -v[53:54]
	v_add_f64 v[49:50], v[0:1], v[66:67]
	v_add_f64 v[53:54], v[66:67], -v[0:1]
	v_add_f64 v[0:1], v[108:109], v[94:95]
	v_add_f64 v[66:67], v[110:111], v[59:60]
	v_add_f64 v[33:34], v[96:97], -v[80:81]
	v_add_f64 v[37:38], v[80:81], v[96:97]
	v_mov_b32_e32 v80, 4
	v_mul_f64 v[88:89], v[98:99], v[88:89]
	v_add_f64 v[76:77], v[76:77], v[39:40]
	v_fma_f64 v[92:93], v[78:79], s[16:17], v[92:93]
	v_add_f64 v[43:44], v[51:52], -v[55:56]
	v_add_f64 v[47:48], v[55:56], v[51:52]
	v_add_f64 v[51:52], v[70:71], -v[72:73]
	v_add_f64 v[55:56], v[72:73], v[70:71]
	v_mul_u32_u24_e32 v61, 0x310, v27
	v_lshlrev_b32_sdwa v81, v80, v28 dst_sel:DWORD dst_unused:UNUSED_PAD src0_sel:DWORD src1_sel:BYTE_0
	v_add_f64 v[70:71], v[68:69], v[124:125]
	v_add_f64 v[27:28], v[66:67], v[0:1]
	v_add3_u32 v81, 0, v61, v81
	v_fma_f64 v[86:87], v[100:101], v[86:87], v[88:89]
	v_add_f64 v[35:36], v[92:93], v[76:77]
	; wave barrier
	ds_write_b128 v81, v[29:32]
	ds_write_b128 v81, v[49:52] offset:112
	ds_write_b128 v81, v[41:44] offset:224
	v_add_f64 v[39:40], v[76:77], -v[92:93]
	v_add_f64 v[76:77], v[122:123], v[64:65]
	v_add_f64 v[31:32], v[70:71], v[27:28]
	ds_write_b128 v81, v[33:36] offset:336
	ds_write_b128 v81, v[37:40] offset:448
	v_add_f64 v[74:75], v[120:121], v[86:87]
	v_add_f64 v[33:34], v[122:123], -v[64:65]
	v_add_f64 v[35:36], v[62:63], -v[57:58]
	ds_write_b128 v81, v[45:48] offset:560
	v_add_f64 v[27:28], v[82:83], v[31:32]
	v_add_f64 v[45:46], v[110:111], -v[59:60]
	v_add_f64 v[51:52], v[124:125], -v[68:69]
	v_add_f64 v[72:73], v[57:58], v[62:63]
	v_add_f64 v[78:79], v[76:77], v[74:75]
	v_add_f64 v[37:38], v[70:71], -v[66:67]
	v_add_f64 v[39:40], v[108:109], -v[94:95]
	;; [unrolled: 1-line block ×5, first 2 shown]
	v_fma_f64 v[65:66], v[31:32], s[26:27], v[27:28]
	v_add_f64 v[31:32], v[51:52], -v[45:46]
	v_add_f64 v[41:42], v[72:73], v[78:79]
	v_add_f64 v[63:64], v[35:36], v[33:34]
	v_add_f64 v[0:1], v[0:1], -v[70:71]
	v_add_f64 v[33:34], v[33:34], -v[43:44]
	v_mul_f64 v[47:48], v[47:48], s[24:25]
	v_add_f64 v[69:70], v[51:52], v[45:46]
	v_add_f64 v[45:46], v[45:46], -v[39:40]
	v_mul_f64 v[78:79], v[31:32], s[24:25]
	v_add_f64 v[31:32], v[74:75], -v[72:73]
	v_add_f64 v[59:60], v[72:73], -v[76:77]
	v_add_f64 v[29:30], v[84:85], v[41:42]
	v_mul_f64 v[57:58], v[37:38], s[0:1]
	v_add_f64 v[61:62], v[76:77], -v[74:75]
	v_add_f64 v[63:64], v[63:64], v[43:44]
	v_fma_f64 v[76:77], v[33:34], s[20:21], -v[47:48]
	v_add_f64 v[69:70], v[69:70], v[39:40]
	v_add_f64 v[39:40], v[39:40], -v[51:52]
	v_fma_f64 v[51:52], v[45:46], s[20:21], -v[78:79]
	v_add_f64 v[35:36], v[43:44], -v[35:36]
	v_mul_f64 v[0:1], v[0:1], s[14:15]
	v_mul_f64 v[43:44], v[31:32], s[14:15]
	;; [unrolled: 1-line block ×5, first 2 shown]
	v_fma_f64 v[57:58], v[49:50], s[22:23], -v[57:58]
	v_fma_f64 v[41:42], v[41:42], s[26:27], v[29:30]
	ds_write_b128 v81, v[53:56] offset:672
	v_fma_f64 v[49:50], v[49:50], s[8:9], -v[0:1]
	v_fma_f64 v[0:1], v[37:38], s[0:1], v[0:1]
	v_fma_f64 v[33:34], v[35:36], s[18:19], -v[33:34]
	v_fma_f64 v[45:46], v[39:40], s[18:19], -v[45:46]
	v_fma_f64 v[37:38], v[59:60], s[0:1], v[43:44]
	v_fma_f64 v[35:36], v[35:36], s[6:7], v[47:48]
	;; [unrolled: 1-line block ×3, first 2 shown]
	v_fma_f64 v[55:56], v[61:62], s[8:9], -v[43:44]
	v_fma_f64 v[67:68], v[61:62], s[22:23], -v[67:68]
	v_fma_f64 v[71:72], v[63:64], s[16:17], v[76:77]
	v_add_f64 v[43:44], v[49:50], v[65:66]
	v_fma_f64 v[47:48], v[63:64], s[16:17], v[33:34]
	v_add_f64 v[0:1], v[0:1], v[65:66]
	v_add_f64 v[59:60], v[37:38], v[41:42]
	v_fma_f64 v[61:62], v[63:64], s[16:17], v[35:36]
	v_fma_f64 v[63:64], v[69:70], s[16:17], v[39:40]
	v_add_f64 v[55:56], v[55:56], v[41:42]
	v_fma_f64 v[45:46], v[69:70], s[16:17], v[45:46]
	v_add_f64 v[57:58], v[57:58], v[65:66]
	v_add_f64 v[53:54], v[67:68], v[41:42]
	v_fma_f64 v[51:52], v[69:70], s[16:17], v[51:52]
	v_add_f64 v[39:40], v[47:48], v[43:44]
	v_add_f64 v[43:44], v[43:44], -v[47:48]
	v_add_f64 v[47:48], v[61:62], v[0:1]
	v_add_f64 v[49:50], v[59:60], -v[63:64]
	v_add_f64 v[41:42], v[55:56], -v[45:46]
	;; [unrolled: 1-line block ×3, first 2 shown]
	v_add_f64 v[35:36], v[71:72], v[57:58]
	v_add_f64 v[33:34], v[51:52], v[53:54]
	v_add_f64 v[37:38], v[53:54], -v[51:52]
	v_add_f64 v[45:46], v[45:46], v[55:56]
	v_add_f64 v[51:52], v[0:1], -v[61:62]
	v_add_f64 v[53:54], v[63:64], v[59:60]
	v_lshlrev_b32_sdwa v0, v80, v26 dst_sel:DWORD dst_unused:UNUSED_PAD src0_sel:DWORD src1_sel:BYTE_0
	v_mul_u32_u24_e32 v1, 0x310, v25
	v_add3_u32 v0, 0, v1, v0
	ds_write_b128 v0, v[27:30]
	ds_write_b128 v0, v[47:50] offset:112
	ds_write_b128 v0, v[39:42] offset:224
	;; [unrolled: 1-line block ×6, first 2 shown]
	v_mul_u32_u24_e32 v0, 6, v6
	v_lshlrev_b32_e32 v0, 4, v0
	s_waitcnt lgkmcnt(0)
	; wave barrier
	s_waitcnt lgkmcnt(0)
	global_load_dwordx4 v[25:28], v0, s[12:13] offset:672
	global_load_dwordx4 v[29:32], v0, s[12:13] offset:688
	global_load_dwordx4 v[33:36], v0, s[12:13] offset:704
	global_load_dwordx4 v[37:40], v0, s[12:13] offset:736
	global_load_dwordx4 v[41:44], v0, s[12:13] offset:752
	global_load_dwordx4 v[45:48], v0, s[12:13] offset:720
	ds_read_b128 v[49:52], v24
	ds_read_b128 v[53:56], v22 offset:2352
	ds_read_b128 v[57:60], v23
	ds_read_b128 v[61:64], v22
	ds_read_b128 v[65:68], v22 offset:3920
	v_lshlrev_b64 v[20:21], 4, v[20:21]
	s_waitcnt vmcnt(5) lgkmcnt(4)
	v_mul_f64 v[0:1], v[51:52], v[27:28]
	v_mul_f64 v[69:70], v[49:50], v[27:28]
	s_waitcnt vmcnt(4) lgkmcnt(2)
	v_mul_f64 v[71:72], v[59:60], v[31:32]
	v_mul_f64 v[73:74], v[57:58], v[31:32]
	;; [unrolled: 1-line block ×4, first 2 shown]
	v_fma_f64 v[0:1], v[49:50], v[25:26], -v[0:1]
	v_fma_f64 v[99:100], v[51:52], v[25:26], v[69:70]
	ds_read_b128 v[49:52], v22 offset:5488
	v_fma_f64 v[103:104], v[57:58], v[29:30], -v[71:72]
	ds_read_b128 v[69:72], v2
	v_fma_f64 v[105:106], v[59:60], v[29:30], v[73:74]
	ds_read_b128 v[57:60], v22 offset:7840
	ds_read_b128 v[73:76], v22 offset:9408
	ds_read_b128 v[77:80], v3
	ds_read_b128 v[89:92], v22 offset:6272
	ds_read_b128 v[93:96], v22 offset:7056
	s_waitcnt vmcnt(2) lgkmcnt(4)
	v_mul_f64 v[109:110], v[59:60], v[39:40]
	s_waitcnt vmcnt(1) lgkmcnt(3)
	v_mul_f64 v[111:112], v[75:76], v[43:44]
	v_mul_f64 v[107:108], v[71:72], v[35:36]
	;; [unrolled: 1-line block ×4, first 2 shown]
	s_waitcnt vmcnt(0) lgkmcnt(1)
	v_mul_f64 v[119:120], v[91:92], v[47:48]
	v_mul_f64 v[101:102], v[67:68], v[31:32]
	v_mul_f64 v[31:32], v[65:66], v[31:32]
	v_fma_f64 v[57:58], v[57:58], v[37:38], -v[109:110]
	v_fma_f64 v[73:74], v[73:74], v[41:42], -v[111:112]
	v_mul_f64 v[117:118], v[69:70], v[35:36]
	v_mul_f64 v[121:122], v[89:90], v[47:48]
	v_fma_f64 v[75:76], v[75:76], v[41:42], v[113:114]
	v_fma_f64 v[59:60], v[59:60], v[37:38], v[115:116]
	v_fma_f64 v[69:70], v[69:70], v[33:34], -v[107:108]
	v_fma_f64 v[89:90], v[89:90], v[45:46], -v[119:120]
	v_add_f64 v[109:110], v[103:104], v[57:58]
	v_add_f64 v[107:108], v[0:1], v[73:74]
	ds_read_b128 v[81:84], v22 offset:8624
	ds_read_b128 v[85:88], v22 offset:10192
	v_fma_f64 v[71:72], v[71:72], v[33:34], v[117:118]
	v_fma_f64 v[91:92], v[91:92], v[45:46], v[121:122]
	v_add_f64 v[111:112], v[99:100], v[75:76]
	v_add_f64 v[113:114], v[105:106], v[59:60]
	v_fma_f64 v[53:54], v[53:54], v[25:26], -v[97:98]
	v_fma_f64 v[55:56], v[55:56], v[25:26], v[27:28]
	v_fma_f64 v[65:66], v[65:66], v[29:30], -v[101:102]
	v_fma_f64 v[67:68], v[67:68], v[29:30], v[31:32]
	v_add_f64 v[29:30], v[69:70], v[89:90]
	v_add_f64 v[25:26], v[109:110], v[107:108]
	v_mul_f64 v[97:98], v[51:52], v[35:36]
	v_mul_f64 v[35:36], v[49:50], v[35:36]
	s_waitcnt lgkmcnt(2)
	v_mul_f64 v[101:102], v[95:96], v[47:48]
	v_mul_f64 v[47:48], v[93:94], v[47:48]
	s_waitcnt lgkmcnt(1)
	v_mul_f64 v[115:116], v[83:84], v[39:40]
	v_mul_f64 v[39:40], v[81:82], v[39:40]
	v_add_f64 v[31:32], v[71:72], v[91:92]
	v_add_f64 v[27:28], v[113:114], v[111:112]
	;; [unrolled: 1-line block ×3, first 2 shown]
	v_fma_f64 v[49:50], v[49:50], v[33:34], -v[97:98]
	v_fma_f64 v[51:52], v[51:52], v[33:34], v[35:36]
	v_fma_f64 v[93:94], v[93:94], v[45:46], -v[101:102]
	v_fma_f64 v[95:96], v[95:96], v[45:46], v[47:48]
	v_fma_f64 v[83:84], v[83:84], v[37:38], v[39:40]
	v_add_f64 v[33:34], v[105:106], -v[59:60]
	v_add_f64 v[35:36], v[91:92], -v[71:72]
	;; [unrolled: 1-line block ×4, first 2 shown]
	v_add_f64 v[119:120], v[31:32], v[27:28]
	v_fma_f64 v[81:82], v[81:82], v[37:38], -v[115:116]
	v_add_f64 v[25:26], v[61:62], v[117:118]
	v_add_f64 v[0:1], v[0:1], -v[73:74]
	v_add_f64 v[37:38], v[99:100], -v[75:76]
	v_add_f64 v[47:48], v[29:30], -v[109:110]
	v_add_f64 v[57:58], v[31:32], -v[113:114]
	v_add_f64 v[61:62], v[35:36], -v[33:34]
	v_add_f64 v[71:72], v[45:46], -v[39:40]
	v_add_f64 v[29:30], v[107:108], -v[29:30]
	v_add_f64 v[27:28], v[63:64], v[119:120]
	v_add_f64 v[59:60], v[109:110], -v[107:108]
	v_add_f64 v[63:64], v[113:114], -v[111:112]
	v_add_f64 v[69:70], v[35:36], v[33:34]
	v_add_f64 v[33:34], v[33:34], -v[37:38]
	v_mul_f64 v[73:74], v[47:48], s[0:1]
	v_mul_f64 v[75:76], v[57:58], s[0:1]
	v_add_f64 v[89:90], v[45:46], v[39:40]
	v_mul_f64 v[61:62], v[61:62], s[24:25]
	v_add_f64 v[39:40], v[39:40], -v[0:1]
	v_mul_f64 v[71:72], v[71:72], s[24:25]
	v_add_f64 v[31:32], v[111:112], -v[31:32]
	s_waitcnt lgkmcnt(0)
	v_mul_f64 v[103:104], v[87:88], v[43:44]
	v_mul_f64 v[105:106], v[29:30], s[14:15]
	v_fma_f64 v[91:92], v[117:118], s[26:27], v[25:26]
	v_fma_f64 v[97:98], v[119:120], s[26:27], v[27:28]
	v_fma_f64 v[73:74], v[59:60], s[22:23], -v[73:74]
	v_fma_f64 v[75:76], v[63:64], s[22:23], -v[75:76]
	v_add_f64 v[89:90], v[89:90], v[0:1]
	v_add_f64 v[69:70], v[69:70], v[37:38]
	v_fma_f64 v[99:100], v[33:34], s[20:21], -v[61:62]
	v_fma_f64 v[101:102], v[39:40], s[20:21], -v[71:72]
	v_mul_f64 v[43:44], v[85:86], v[43:44]
	v_mul_f64 v[107:108], v[31:32], s[14:15]
	v_add_f64 v[0:1], v[0:1], -v[45:46]
	v_add_f64 v[45:46], v[37:38], -v[35:36]
	v_mul_f64 v[33:34], v[33:34], s[20:21]
	v_mul_f64 v[35:36], v[39:40], s[20:21]
	v_fma_f64 v[37:38], v[59:60], s[8:9], -v[105:106]
	v_fma_f64 v[59:60], v[85:86], v[41:42], -v[103:104]
	v_add_f64 v[73:74], v[73:74], v[91:92]
	v_add_f64 v[75:76], v[75:76], v[97:98]
	v_fma_f64 v[99:100], v[69:70], s[16:17], v[99:100]
	v_fma_f64 v[101:102], v[89:90], s[16:17], v[101:102]
	v_fma_f64 v[39:40], v[63:64], s[8:9], -v[107:108]
	v_fma_f64 v[63:64], v[87:88], v[41:42], v[43:44]
	v_fma_f64 v[33:34], v[45:46], s[18:19], -v[33:34]
	v_fma_f64 v[35:36], v[0:1], s[18:19], -v[35:36]
	v_add_f64 v[85:86], v[53:54], v[59:60]
	v_add_f64 v[87:88], v[65:66], v[81:82]
	v_add_f64 v[29:30], v[73:74], -v[99:100]
	v_add_f64 v[31:32], v[101:102], v[75:76]
	v_add_f64 v[109:110], v[67:68], v[83:84]
	v_add_f64 v[103:104], v[55:56], v[63:64]
	v_fma_f64 v[111:112], v[69:70], s[16:17], v[33:34]
	v_fma_f64 v[113:114], v[89:90], s[16:17], v[35:36]
	v_add_f64 v[33:34], v[99:100], v[73:74]
	v_add_f64 v[35:36], v[75:76], -v[101:102]
	v_add_f64 v[73:74], v[49:50], v[93:94]
	v_add_f64 v[75:76], v[87:88], v[85:86]
	;; [unrolled: 1-line block ×4, first 2 shown]
	v_fma_f64 v[45:46], v[45:46], s[6:7], v[61:62]
	v_fma_f64 v[47:48], v[47:48], s[0:1], v[105:106]
	;; [unrolled: 1-line block ×3, first 2 shown]
	v_add_f64 v[67:68], v[67:68], -v[83:84]
	v_add_f64 v[55:56], v[55:56], -v[63:64]
	v_add_f64 v[61:62], v[73:74], v[75:76]
	v_add_f64 v[63:64], v[73:74], -v[87:88]
	v_add_f64 v[71:72], v[99:100], v[101:102]
	v_fma_f64 v[69:70], v[69:70], s[16:17], v[45:46]
	v_add_f64 v[75:76], v[47:48], v[91:92]
	v_fma_f64 v[57:58], v[57:58], s[0:1], v[107:108]
	v_add_f64 v[53:54], v[53:54], -v[59:60]
	v_add_f64 v[41:42], v[37:38], v[91:92]
	v_add_f64 v[45:46], v[77:78], v[61:62]
	v_add_f64 v[77:78], v[95:96], -v[51:52]
	v_add_f64 v[51:52], v[65:66], -v[81:82]
	;; [unrolled: 1-line block ×3, first 2 shown]
	v_add_f64 v[47:48], v[79:80], v[71:72]
	v_add_f64 v[79:80], v[99:100], -v[109:110]
	v_fma_f64 v[0:1], v[89:90], s[16:17], v[0:1]
	v_add_f64 v[81:82], v[87:88], -v[85:86]
	v_add_f64 v[83:84], v[109:110], -v[103:104]
	;; [unrolled: 1-line block ×3, first 2 shown]
	v_add_f64 v[87:88], v[77:78], v[67:68]
	v_add_f64 v[59:60], v[65:66], -v[51:52]
	v_add_f64 v[67:68], v[67:68], -v[55:56]
	v_mul_f64 v[89:90], v[63:64], s[0:1]
	v_mul_f64 v[91:92], v[79:80], s[0:1]
	v_add_f64 v[93:94], v[65:66], v[51:52]
	v_add_f64 v[73:74], v[85:86], -v[73:74]
	v_mul_f64 v[95:96], v[49:50], s[24:25]
	v_add_f64 v[85:86], v[103:104], -v[99:100]
	v_add_f64 v[43:44], v[39:40], v[97:98]
	v_add_f64 v[57:58], v[57:58], v[97:98]
	v_add_f64 v[97:98], v[51:52], -v[53:54]
	v_mul_f64 v[101:102], v[59:60], s[24:25]
	v_fma_f64 v[59:60], v[81:82], s[22:23], -v[89:90]
	v_fma_f64 v[89:90], v[83:84], s[22:23], -v[91:92]
	v_add_f64 v[91:92], v[93:94], v[53:54]
	v_fma_f64 v[93:94], v[67:68], s[20:21], -v[95:96]
	v_add_f64 v[77:78], v[55:56], -v[77:78]
	v_mul_f64 v[73:74], v[73:74], s[14:15]
	v_mul_f64 v[85:86], v[85:86], s[14:15]
	;; [unrolled: 1-line block ×3, first 2 shown]
	v_fma_f64 v[105:106], v[97:98], s[20:21], -v[101:102]
	v_add_f64 v[65:66], v[53:54], -v[65:66]
	v_mul_f64 v[97:98], v[97:98], s[20:21]
	v_fma_f64 v[61:62], v[61:62], s[26:27], v[45:46]
	v_fma_f64 v[71:72], v[71:72], s[26:27], v[47:48]
	v_add_f64 v[87:88], v[87:88], v[55:56]
	v_add_f64 v[49:50], v[69:70], v[75:76]
	v_add_f64 v[51:52], v[57:58], -v[0:1]
	v_add_f64 v[53:54], v[75:76], -v[69:70]
	v_add_f64 v[55:56], v[0:1], v[57:58]
	v_fma_f64 v[0:1], v[81:82], s[8:9], -v[73:74]
	v_fma_f64 v[69:70], v[83:84], s[8:9], -v[85:86]
	;; [unrolled: 1-line block ×4, first 2 shown]
	v_fma_f64 v[63:64], v[63:64], s[0:1], v[73:74]
	v_fma_f64 v[73:74], v[79:80], s[0:1], v[85:86]
	;; [unrolled: 1-line block ×4, first 2 shown]
	v_add_f64 v[0:1], v[0:1], v[61:62]
	v_add_f64 v[79:80], v[69:70], v[71:72]
	v_fma_f64 v[69:70], v[87:88], s[16:17], v[67:68]
	v_add_f64 v[99:100], v[59:60], v[61:62]
	v_add_f64 v[89:90], v[89:90], v[71:72]
	v_fma_f64 v[93:94], v[87:88], s[16:17], v[93:94]
	v_fma_f64 v[103:104], v[91:92], s[16:17], v[105:106]
	;; [unrolled: 1-line block ×3, first 2 shown]
	v_add_f64 v[81:82], v[63:64], v[61:62]
	v_add_f64 v[83:84], v[73:74], v[71:72]
	v_fma_f64 v[77:78], v[87:88], s[16:17], v[77:78]
	v_fma_f64 v[85:86], v[91:92], s[16:17], v[65:66]
	v_add_f64 v[37:38], v[111:112], v[41:42]
	v_add_f64 v[39:40], v[43:44], -v[113:114]
	v_add_f64 v[41:42], v[41:42], -v[111:112]
	v_add_f64 v[43:44], v[113:114], v[43:44]
	v_add_f64 v[65:66], v[69:70], v[0:1]
	v_add_f64 v[69:70], v[0:1], -v[69:70]
	v_lshlrev_b64 v[0:1], 4, v[6:7]
	v_add_f64 v[57:58], v[99:100], -v[93:94]
	v_add_f64 v[59:60], v[103:104], v[89:90]
	v_add_f64 v[61:62], v[93:94], v[99:100]
	v_add_f64 v[63:64], v[89:90], -v[103:104]
	v_add_f64 v[67:68], v[79:80], -v[75:76]
	v_add_f64 v[71:72], v[75:76], v[79:80]
	v_add_f64 v[73:74], v[77:78], v[81:82]
	v_add_f64 v[75:76], v[83:84], -v[85:86]
	v_add_f64 v[77:78], v[81:82], -v[77:78]
	v_add_f64 v[79:80], v[85:86], v[83:84]
	s_waitcnt lgkmcnt(0)
	; wave barrier
	ds_write_b128 v22, v[25:28]
	ds_write_b128 v22, v[49:52] offset:784
	ds_write_b128 v22, v[37:40] offset:1568
	;; [unrolled: 1-line block ×13, first 2 shown]
	v_mov_b32_e32 v45, s13
	v_add_co_u32_e64 v0, s[0:1], s12, v0
	v_addc_co_u32_e64 v1, s[0:1], v45, v1, s[0:1]
	s_movk_i32 s6, 0x1000
	v_add_co_u32_e64 v0, s[0:1], s6, v0
	v_addc_co_u32_e64 v1, s[0:1], 0, v1, s[0:1]
	v_add_co_u32_e64 v7, s[0:1], s12, v20
	v_addc_co_u32_e64 v21, s[0:1], v45, v21, s[0:1]
	;; [unrolled: 2-line block ×3, first 2 shown]
	s_waitcnt lgkmcnt(0)
	; wave barrier
	s_waitcnt lgkmcnt(0)
	global_load_dwordx4 v[25:28], v[0:1], off offset:1280
	global_load_dwordx4 v[29:32], v[20:21], off offset:1280
	v_lshlrev_b64 v[0:1], 4, v[16:17]
	v_lshlrev_b64 v[16:17], 4, v[10:11]
	v_add_co_u32_e64 v0, s[0:1], s12, v0
	v_addc_co_u32_e64 v1, s[0:1], v45, v1, s[0:1]
	v_add_co_u32_e64 v0, s[0:1], s6, v0
	v_addc_co_u32_e64 v1, s[0:1], 0, v1, s[0:1]
	;; [unrolled: 2-line block ×4, first 2 shown]
	global_load_dwordx4 v[33:36], v[0:1], off offset:1280
	global_load_dwordx4 v[37:40], v[16:17], off offset:1280
	v_lshlrev_b64 v[0:1], 4, v[18:19]
	v_lshlrev_b64 v[16:17], 4, v[12:13]
	v_add_co_u32_e64 v0, s[0:1], s12, v0
	v_addc_co_u32_e64 v1, s[0:1], v45, v1, s[0:1]
	v_add_co_u32_e64 v0, s[0:1], s6, v0
	v_addc_co_u32_e64 v1, s[0:1], 0, v1, s[0:1]
	;; [unrolled: 2-line block ×4, first 2 shown]
	global_load_dwordx4 v[16:19], v[0:1], off offset:1280
	global_load_dwordx4 v[41:44], v[20:21], off offset:1280
	v_lshlrev_b64 v[0:1], 4, v[14:15]
	v_lshl_add_u32 v7, v10, 4, 0
	v_add_co_u32_e64 v0, s[0:1], s12, v0
	v_addc_co_u32_e64 v1, s[0:1], v45, v1, s[0:1]
	v_add_co_u32_e64 v0, s[0:1], s6, v0
	v_addc_co_u32_e64 v1, s[0:1], 0, v1, s[0:1]
	global_load_dwordx4 v[45:48], v[0:1], off offset:1280
	ds_read_b128 v[49:52], v22 offset:5488
	ds_read_b128 v[53:56], v22 offset:6272
	ds_read_b128 v[57:60], v22
	ds_read_b128 v[61:64], v22 offset:7056
	ds_read_b128 v[65:68], v22 offset:7840
	;; [unrolled: 1-line block ×3, first 2 shown]
	s_waitcnt vmcnt(6) lgkmcnt(5)
	v_mul_f64 v[0:1], v[51:52], v[27:28]
	v_mul_f64 v[13:14], v[49:50], v[27:28]
	s_waitcnt vmcnt(5) lgkmcnt(4)
	v_mul_f64 v[20:21], v[55:56], v[31:32]
	v_mul_f64 v[27:28], v[53:54], v[31:32]
	v_fma_f64 v[0:1], v[49:50], v[25:26], -v[0:1]
	v_fma_f64 v[49:50], v[51:52], v[25:26], v[13:14]
	v_fma_f64 v[51:52], v[55:56], v[29:30], v[27:28]
	ds_read_b128 v[25:28], v22 offset:9408
	s_waitcnt vmcnt(4) lgkmcnt(3)
	v_mul_f64 v[31:32], v[63:64], v[35:36]
	v_mul_f64 v[35:36], v[61:62], v[35:36]
	s_waitcnt vmcnt(3) lgkmcnt(2)
	v_mul_f64 v[73:74], v[67:68], v[39:40]
	v_mul_f64 v[13:14], v[65:66], v[39:40]
	v_fma_f64 v[39:40], v[53:54], v[29:30], -v[20:21]
	v_fma_f64 v[53:54], v[61:62], v[33:34], -v[31:32]
	ds_read_b128 v[29:32], v22 offset:10192
	v_fma_f64 v[55:56], v[63:64], v[33:34], v[35:36]
	v_fma_f64 v[61:62], v[65:66], v[37:38], -v[73:74]
	v_fma_f64 v[63:64], v[67:68], v[37:38], v[13:14]
	v_add_f64 v[13:14], v[57:58], -v[0:1]
	s_waitcnt vmcnt(2) lgkmcnt(2)
	v_mul_f64 v[20:21], v[71:72], v[18:19]
	v_mul_f64 v[18:19], v[69:70], v[18:19]
	v_fma_f64 v[65:66], v[69:70], v[16:17], -v[20:21]
	v_fma_f64 v[0:1], v[71:72], v[16:17], v[18:19]
	ds_read_b128 v[17:20], v3
	s_waitcnt vmcnt(1) lgkmcnt(2)
	v_mul_f64 v[33:34], v[27:28], v[43:44]
	v_mul_f64 v[35:36], v[25:26], v[43:44]
	s_waitcnt vmcnt(0) lgkmcnt(1)
	v_mul_f64 v[37:38], v[31:32], v[47:48]
	v_mul_f64 v[43:44], v[29:30], v[47:48]
	v_add_f64 v[15:16], v[59:60], -v[49:50]
	v_fma_f64 v[67:68], v[25:26], v[41:42], -v[33:34]
	v_fma_f64 v[69:70], v[27:28], v[41:42], v[35:36]
	v_fma_f64 v[71:72], v[29:30], v[45:46], -v[37:38]
	v_fma_f64 v[73:74], v[31:32], v[45:46], v[43:44]
	ds_read_b128 v[25:28], v24
	ds_read_b128 v[29:32], v2
	s_waitcnt lgkmcnt(2)
	v_add_f64 v[33:34], v[17:18], -v[39:40]
	v_add_f64 v[35:36], v[19:20], -v[51:52]
	v_fma_f64 v[45:46], v[57:58], 2.0, -v[13:14]
	s_waitcnt lgkmcnt(1)
	v_add_f64 v[41:42], v[25:26], -v[53:54]
	v_add_f64 v[43:44], v[27:28], -v[55:56]
	v_fma_f64 v[47:48], v[59:60], 2.0, -v[15:16]
	ds_read_b128 v[37:40], v23
	v_lshl_add_u32 v57, v12, 4, 0
	v_fma_f64 v[17:18], v[17:18], 2.0, -v[33:34]
	v_fma_f64 v[19:20], v[19:20], 2.0, -v[35:36]
	ds_read_b128 v[49:52], v7
	ds_read_b128 v[53:56], v57
	v_fma_f64 v[25:26], v[25:26], 2.0, -v[41:42]
	v_fma_f64 v[27:28], v[27:28], 2.0, -v[43:44]
	s_waitcnt lgkmcnt(0)
	; wave barrier
	s_waitcnt lgkmcnt(0)
	ds_write_b128 v22, v[45:48]
	ds_write_b128 v22, v[13:16] offset:5488
	ds_write_b128 v3, v[17:20]
	ds_write_b128 v3, v[33:36] offset:5488
	ds_write_b128 v24, v[25:28]
	v_add_f64 v[10:11], v[49:50], -v[61:62]
	v_add_f64 v[12:13], v[51:52], -v[63:64]
	;; [unrolled: 1-line block ×8, first 2 shown]
	v_fma_f64 v[33:34], v[49:50], 2.0, -v[10:11]
	v_fma_f64 v[35:36], v[51:52], 2.0, -v[12:13]
	;; [unrolled: 1-line block ×8, first 2 shown]
	ds_write_b128 v24, v[41:44] offset:5488
	ds_write_b128 v7, v[33:36]
	ds_write_b128 v7, v[10:13] offset:5488
	ds_write_b128 v23, v[37:40]
	;; [unrolled: 2-line block ×4, first 2 shown]
	ds_write_b128 v2, v[25:28] offset:5488
	s_waitcnt lgkmcnt(0)
	; wave barrier
	s_waitcnt lgkmcnt(0)
	s_and_saveexec_b64 s[0:1], vcc
	s_cbranch_execz .LBB0_15
; %bb.14:
	v_mul_lo_u32 v2, s5, v8
	v_mul_lo_u32 v3, s4, v9
	v_mad_u64_u32 v[7:8], s[0:1], s4, v8, 0
	v_mad_u64_u32 v[10:11], s[0:1], s2, v6, 0
	v_add3_u32 v8, v8, v3, v2
	v_lshlrev_b64 v[7:8], 4, v[7:8]
	v_mov_b32_e32 v0, v11
	v_mov_b32_e32 v9, s11
	v_add_co_u32_e32 v7, vcc, s10, v7
	v_mad_u64_u32 v[0:1], s[0:1], s3, v6, v[0:1]
	v_addc_co_u32_e32 v8, vcc, v9, v8, vcc
	v_add_u32_e32 v9, 49, v6
	v_mad_u64_u32 v[12:13], s[0:1], s2, v9, 0
	v_lshlrev_b64 v[4:5], 4, v[4:5]
	v_lshl_add_u32 v15, v6, 4, 0
	v_mov_b32_e32 v11, v0
	ds_read_b128 v[0:3], v15
	v_add_co_u32_e32 v16, vcc, v7, v4
	v_addc_co_u32_e32 v17, vcc, v8, v5, vcc
	v_lshlrev_b64 v[4:5], 4, v[10:11]
	v_mov_b32_e32 v7, v13
	v_mad_u64_u32 v[13:14], s[0:1], s3, v9, v[7:8]
	ds_read_b128 v[7:10], v15 offset:784
	v_add_co_u32_e32 v4, vcc, v16, v4
	v_addc_co_u32_e32 v5, vcc, v17, v5, vcc
	s_waitcnt lgkmcnt(1)
	global_store_dwordx4 v[4:5], v[0:3], off
	s_nop 0
	v_add_u32_e32 v2, 0x62, v6
	v_lshlrev_b64 v[0:1], 4, v[12:13]
	v_mad_u64_u32 v[4:5], s[0:1], s2, v2, 0
	v_add_co_u32_e32 v0, vcc, v16, v0
	v_addc_co_u32_e32 v1, vcc, v17, v1, vcc
	s_waitcnt lgkmcnt(0)
	global_store_dwordx4 v[0:1], v[7:10], off
	v_mov_b32_e32 v0, v5
	v_mad_u64_u32 v[0:1], s[0:1], s3, v2, v[0:1]
	v_add_u32_e32 v8, 0x93, v6
	v_mad_u64_u32 v[11:12], s[0:1], s2, v8, 0
	v_mov_b32_e32 v5, v0
	ds_read_b128 v[0:3], v15 offset:1568
	v_lshlrev_b64 v[4:5], 4, v[4:5]
	v_mov_b32_e32 v7, v12
	v_mad_u64_u32 v[12:13], s[0:1], s3, v8, v[7:8]
	ds_read_b128 v[7:10], v15 offset:2352
	v_add_co_u32_e32 v4, vcc, v16, v4
	v_addc_co_u32_e32 v5, vcc, v17, v5, vcc
	s_waitcnt lgkmcnt(1)
	global_store_dwordx4 v[4:5], v[0:3], off
	s_nop 0
	v_add_u32_e32 v2, 0xc4, v6
	v_lshlrev_b64 v[0:1], 4, v[11:12]
	v_mad_u64_u32 v[4:5], s[0:1], s2, v2, 0
	v_add_co_u32_e32 v0, vcc, v16, v0
	v_addc_co_u32_e32 v1, vcc, v17, v1, vcc
	s_waitcnt lgkmcnt(0)
	global_store_dwordx4 v[0:1], v[7:10], off
	v_mov_b32_e32 v0, v5
	v_mad_u64_u32 v[0:1], s[0:1], s3, v2, v[0:1]
	v_add_u32_e32 v8, 0xf5, v6
	v_mad_u64_u32 v[11:12], s[0:1], s2, v8, 0
	v_mov_b32_e32 v5, v0
	ds_read_b128 v[0:3], v15 offset:3136
	;; [unrolled: 22-line block ×5, first 2 shown]
	v_lshlrev_b64 v[4:5], 4, v[4:5]
	v_mov_b32_e32 v7, v12
	v_mad_u64_u32 v[12:13], s[0:1], s3, v8, v[7:8]
	ds_read_b128 v[7:10], v15 offset:8624
	v_add_co_u32_e32 v4, vcc, v16, v4
	v_addc_co_u32_e32 v5, vcc, v17, v5, vcc
	s_waitcnt lgkmcnt(1)
	global_store_dwordx4 v[4:5], v[0:3], off
	s_nop 0
	v_add_u32_e32 v2, 0x24c, v6
	v_lshlrev_b64 v[0:1], 4, v[11:12]
	v_mad_u64_u32 v[4:5], s[0:1], s2, v2, 0
	v_add_co_u32_e32 v0, vcc, v16, v0
	v_addc_co_u32_e32 v1, vcc, v17, v1, vcc
	s_waitcnt lgkmcnt(0)
	global_store_dwordx4 v[0:1], v[7:10], off
	v_mov_b32_e32 v0, v5
	v_add_u32_e32 v7, 0x27d, v6
	v_mad_u64_u32 v[0:1], s[0:1], s3, v2, v[0:1]
	v_mad_u64_u32 v[8:9], s[0:1], s2, v7, 0
	v_mov_b32_e32 v5, v0
	ds_read_b128 v[0:3], v15 offset:9408
	v_mov_b32_e32 v6, v9
	v_lshlrev_b64 v[4:5], 4, v[4:5]
	v_mad_u64_u32 v[9:10], s[0:1], s3, v7, v[6:7]
	v_add_co_u32_e32 v10, vcc, v16, v4
	v_addc_co_u32_e32 v11, vcc, v17, v5, vcc
	ds_read_b128 v[4:7], v15 offset:10192
	s_waitcnt lgkmcnt(1)
	global_store_dwordx4 v[10:11], v[0:3], off
	s_nop 0
	v_lshlrev_b64 v[0:1], 4, v[8:9]
	v_add_co_u32_e32 v0, vcc, v16, v0
	v_addc_co_u32_e32 v1, vcc, v17, v1, vcc
	s_waitcnt lgkmcnt(0)
	global_store_dwordx4 v[0:1], v[4:7], off
.LBB0_15:
	s_endpgm
	.section	.rodata,"a",@progbits
	.p2align	6, 0x0
	.amdhsa_kernel fft_rtc_fwd_len686_factors_7_7_7_2_wgs_49_tpt_49_dp_op_CI_CI_sbrr_dirReg
		.amdhsa_group_segment_fixed_size 0
		.amdhsa_private_segment_fixed_size 0
		.amdhsa_kernarg_size 104
		.amdhsa_user_sgpr_count 6
		.amdhsa_user_sgpr_private_segment_buffer 1
		.amdhsa_user_sgpr_dispatch_ptr 0
		.amdhsa_user_sgpr_queue_ptr 0
		.amdhsa_user_sgpr_kernarg_segment_ptr 1
		.amdhsa_user_sgpr_dispatch_id 0
		.amdhsa_user_sgpr_flat_scratch_init 0
		.amdhsa_user_sgpr_private_segment_size 0
		.amdhsa_uses_dynamic_stack 0
		.amdhsa_system_sgpr_private_segment_wavefront_offset 0
		.amdhsa_system_sgpr_workgroup_id_x 1
		.amdhsa_system_sgpr_workgroup_id_y 0
		.amdhsa_system_sgpr_workgroup_id_z 0
		.amdhsa_system_sgpr_workgroup_info 0
		.amdhsa_system_vgpr_workitem_id 0
		.amdhsa_next_free_vgpr 126
		.amdhsa_next_free_sgpr 32
		.amdhsa_reserve_vcc 1
		.amdhsa_reserve_flat_scratch 0
		.amdhsa_float_round_mode_32 0
		.amdhsa_float_round_mode_16_64 0
		.amdhsa_float_denorm_mode_32 3
		.amdhsa_float_denorm_mode_16_64 3
		.amdhsa_dx10_clamp 1
		.amdhsa_ieee_mode 1
		.amdhsa_fp16_overflow 0
		.amdhsa_exception_fp_ieee_invalid_op 0
		.amdhsa_exception_fp_denorm_src 0
		.amdhsa_exception_fp_ieee_div_zero 0
		.amdhsa_exception_fp_ieee_overflow 0
		.amdhsa_exception_fp_ieee_underflow 0
		.amdhsa_exception_fp_ieee_inexact 0
		.amdhsa_exception_int_div_zero 0
	.end_amdhsa_kernel
	.text
.Lfunc_end0:
	.size	fft_rtc_fwd_len686_factors_7_7_7_2_wgs_49_tpt_49_dp_op_CI_CI_sbrr_dirReg, .Lfunc_end0-fft_rtc_fwd_len686_factors_7_7_7_2_wgs_49_tpt_49_dp_op_CI_CI_sbrr_dirReg
                                        ; -- End function
	.section	.AMDGPU.csdata,"",@progbits
; Kernel info:
; codeLenInByte = 10556
; NumSgprs: 36
; NumVgprs: 126
; ScratchSize: 0
; MemoryBound: 0
; FloatMode: 240
; IeeeMode: 1
; LDSByteSize: 0 bytes/workgroup (compile time only)
; SGPRBlocks: 4
; VGPRBlocks: 31
; NumSGPRsForWavesPerEU: 36
; NumVGPRsForWavesPerEU: 126
; Occupancy: 2
; WaveLimiterHint : 1
; COMPUTE_PGM_RSRC2:SCRATCH_EN: 0
; COMPUTE_PGM_RSRC2:USER_SGPR: 6
; COMPUTE_PGM_RSRC2:TRAP_HANDLER: 0
; COMPUTE_PGM_RSRC2:TGID_X_EN: 1
; COMPUTE_PGM_RSRC2:TGID_Y_EN: 0
; COMPUTE_PGM_RSRC2:TGID_Z_EN: 0
; COMPUTE_PGM_RSRC2:TIDIG_COMP_CNT: 0
	.type	__hip_cuid_ec8762a98c2537b7,@object ; @__hip_cuid_ec8762a98c2537b7
	.section	.bss,"aw",@nobits
	.globl	__hip_cuid_ec8762a98c2537b7
__hip_cuid_ec8762a98c2537b7:
	.byte	0                               ; 0x0
	.size	__hip_cuid_ec8762a98c2537b7, 1

	.ident	"AMD clang version 19.0.0git (https://github.com/RadeonOpenCompute/llvm-project roc-6.4.0 25133 c7fe45cf4b819c5991fe208aaa96edf142730f1d)"
	.section	".note.GNU-stack","",@progbits
	.addrsig
	.addrsig_sym __hip_cuid_ec8762a98c2537b7
	.amdgpu_metadata
---
amdhsa.kernels:
  - .args:
      - .actual_access:  read_only
        .address_space:  global
        .offset:         0
        .size:           8
        .value_kind:     global_buffer
      - .offset:         8
        .size:           8
        .value_kind:     by_value
      - .actual_access:  read_only
        .address_space:  global
        .offset:         16
        .size:           8
        .value_kind:     global_buffer
      - .actual_access:  read_only
        .address_space:  global
        .offset:         24
        .size:           8
        .value_kind:     global_buffer
      - .actual_access:  read_only
        .address_space:  global
        .offset:         32
        .size:           8
        .value_kind:     global_buffer
      - .offset:         40
        .size:           8
        .value_kind:     by_value
      - .actual_access:  read_only
        .address_space:  global
        .offset:         48
        .size:           8
        .value_kind:     global_buffer
      - .actual_access:  read_only
        .address_space:  global
        .offset:         56
        .size:           8
        .value_kind:     global_buffer
      - .offset:         64
        .size:           4
        .value_kind:     by_value
      - .actual_access:  read_only
        .address_space:  global
        .offset:         72
        .size:           8
        .value_kind:     global_buffer
      - .actual_access:  read_only
        .address_space:  global
        .offset:         80
        .size:           8
        .value_kind:     global_buffer
      - .actual_access:  read_only
        .address_space:  global
        .offset:         88
        .size:           8
        .value_kind:     global_buffer
      - .actual_access:  write_only
        .address_space:  global
        .offset:         96
        .size:           8
        .value_kind:     global_buffer
    .group_segment_fixed_size: 0
    .kernarg_segment_align: 8
    .kernarg_segment_size: 104
    .language:       OpenCL C
    .language_version:
      - 2
      - 0
    .max_flat_workgroup_size: 49
    .name:           fft_rtc_fwd_len686_factors_7_7_7_2_wgs_49_tpt_49_dp_op_CI_CI_sbrr_dirReg
    .private_segment_fixed_size: 0
    .sgpr_count:     36
    .sgpr_spill_count: 0
    .symbol:         fft_rtc_fwd_len686_factors_7_7_7_2_wgs_49_tpt_49_dp_op_CI_CI_sbrr_dirReg.kd
    .uniform_work_group_size: 1
    .uses_dynamic_stack: false
    .vgpr_count:     126
    .vgpr_spill_count: 0
    .wavefront_size: 64
amdhsa.target:   amdgcn-amd-amdhsa--gfx906
amdhsa.version:
  - 1
  - 2
...

	.end_amdgpu_metadata
